;; amdgpu-corpus repo=ROCm/rocFFT kind=compiled arch=gfx1201 opt=O3
	.text
	.amdgcn_target "amdgcn-amd-amdhsa--gfx1201"
	.amdhsa_code_object_version 6
	.protected	fft_rtc_back_len1331_factors_11_11_11_wgs_121_tpt_121_sp_op_CI_CI_sbrc_xy_z_diag ; -- Begin function fft_rtc_back_len1331_factors_11_11_11_wgs_121_tpt_121_sp_op_CI_CI_sbrc_xy_z_diag
	.globl	fft_rtc_back_len1331_factors_11_11_11_wgs_121_tpt_121_sp_op_CI_CI_sbrc_xy_z_diag
	.p2align	8
	.type	fft_rtc_back_len1331_factors_11_11_11_wgs_121_tpt_121_sp_op_CI_CI_sbrc_xy_z_diag,@function
fft_rtc_back_len1331_factors_11_11_11_wgs_121_tpt_121_sp_op_CI_CI_sbrc_xy_z_diag: ; @fft_rtc_back_len1331_factors_11_11_11_wgs_121_tpt_121_sp_op_CI_CI_sbrc_xy_z_diag
; %bb.0:
	s_load_b256 s[4:11], s[0:1], 0x0
	v_mov_b32_e32 v1, 0x16b
	v_cmp_gt_u32_e32 vcc_lo, 0x3c8, v0
	v_dual_mov_b32 v37, 0 :: v_dual_mov_b32 v2, 0x1e4
	v_mov_b32_e32 v3, 0x25d
	v_add_nc_u32_e32 v17, 0x79, v0
	v_cndmask_b32_e32 v1, 0xfffffc38, v1, vcc_lo
	v_cmp_gt_u32_e32 vcc_lo, 0x34f, v0
	v_add_nc_u32_e32 v18, 0xf2, v0
	v_lshl_add_u32 v38, v0, 3, 0
	s_wait_alu 0xfffd
	v_cndmask_b32_e32 v2, 0xfffffcb1, v2, vcc_lo
	v_cmp_gt_u32_e32 vcc_lo, 0x2d6, v0
	s_delay_alu instid0(VALU_DEP_3)
	v_add_nc_u32_e32 v42, 0x400, v38
	v_add_nc_u32_e32 v40, 0x1400, v38
	;; [unrolled: 1-line block ×3, first 2 shown]
	s_wait_alu 0xfffd
	v_dual_cndmask_b32 v3, 0xfffffd2a, v3 :: v_dual_add_nc_u32 v20, v0, v2
	s_wait_kmcnt 0x0
	s_load_b128 s[20:23], s[8:9], 0x8
	s_load_b128 s[16:19], s[10:11], 0x0
	s_clause 0x1
	s_load_b128 s[12:15], s[0:1], 0x58
	s_load_b64 s[24:25], s[0:1], 0x20
	v_cmp_gt_u32_e32 vcc_lo, 0x25d, v0
	s_load_b32 s26, s[10:11], 0x10
	v_add_nc_u32_e32 v22, v0, v3
	v_dual_mov_b32 v4, 0x2d6 :: v_dual_add_nc_u32 v19, v0, v1
	s_mov_b32 s9, 0
	v_add_nc_u32_e32 v39, 0x1c00, v38
	s_wait_kmcnt 0x0
	s_mov_b32 s21, s9
	v_cndmask_b32_e32 v21, 0xfffffda3, v4, vcc_lo
	v_cmp_lt_u32_e32 vcc_lo, 0x3c7, v0
	v_mad_co_u64_u32 v[1:2], null, s16, v0, 0
	s_mul_i32 s0, s20, s22
	v_mad_co_u64_u32 v[3:4], null, s16, v17, 0
	s_cvt_f32_u32 s1, s0
	s_sub_co_i32 s2, 0, s0
	v_mad_co_u64_u32 v[5:6], null, s16, v18, 0
	s_delay_alu instid0(SALU_CYCLE_1) | instskip(SKIP_1) | instid1(VALU_DEP_3)
	v_rcp_iflag_f32_e32 v9, s1
	v_mad_co_u64_u32 v[7:8], null, s16, v19, 0
	v_mad_co_u64_u32 v[15:16], null, s17, v0, v[2:3]
	;; [unrolled: 1-line block ×3, first 2 shown]
	s_delay_alu instid0(VALU_DEP_4) | instskip(NEXT) | instid1(VALU_DEP_4)
	v_mad_co_u64_u32 v[16:17], null, s17, v17, v[4:5]
	v_mad_co_u64_u32 v[17:18], null, s17, v18, v[6:7]
	s_delay_alu instid0(TRANS32_DEP_1) | instskip(SKIP_3) | instid1(VALU_DEP_4)
	v_readfirstlane_b32 s1, v9
	v_mad_co_u64_u32 v[9:10], null, s16, v20, 0
	v_mov_b32_e32 v2, v15
	v_mov_b32_e32 v4, v16
	s_mul_f32 s1, s1, 0x4f7ffffe
	v_mov_b32_e32 v6, v17
	s_delay_alu instid0(VALU_DEP_3)
	v_lshlrev_b64_e32 v[1:2], 3, v[1:2]
	s_wait_alu 0xfffe
	s_cvt_u32_f32 s1, s1
	v_mad_co_u64_u32 v[18:19], null, s17, v19, v[8:9]
	v_mad_co_u64_u32 v[19:20], null, s17, v20, v[10:11]
	s_wait_alu 0xfffe
	s_mul_i32 s2, s2, s1
	v_lshlrev_b64_e32 v[3:4], 3, v[3:4]
	s_mul_hi_u32 s2, s1, s2
	v_lshlrev_b64_e32 v[5:6], 3, v[5:6]
	s_delay_alu instid0(VALU_DEP_4)
	v_mov_b32_e32 v8, v18
	s_add_co_i32 s1, s1, s2
	v_mov_b32_e32 v10, v19
	s_wait_alu 0xfffe
	s_mul_hi_u32 s1, ttmp9, s1
	v_add_nc_u32_e32 v19, v0, v21
	s_wait_alu 0xfffe
	s_mul_i32 s2, s1, s0
	s_add_co_i32 s3, s1, 1
	s_sub_co_i32 s2, ttmp9, s2
	v_lshlrev_b64_e32 v[7:8], 3, v[7:8]
	s_sub_co_i32 s8, s2, s0
	s_cmp_ge_u32 s2, s0
	v_lshlrev_b64_e32 v[9:10], 3, v[9:10]
	s_cselect_b32 s1, s3, s1
	s_cselect_b32 s2, s8, s2
	s_wait_alu 0xfffe
	s_add_co_i32 s3, s1, 1
	s_cmp_ge_u32 s2, s0
	v_mad_co_u64_u32 v[15:16], null, s16, v19, 0
	s_cselect_b32 s20, s3, s1
	s_lshl_b64 s[22:23], s[6:7], 3
	s_mul_i32 s0, s20, s0
	v_mov_b32_e32 v20, 0x3c8
	s_wait_alu 0xfffe
	s_sub_co_i32 s2, ttmp9, s0
	s_add_nc_u64 s[0:1], s[10:11], s[22:23]
	s_mul_hi_u32 s3, s2, 0xecf56bf
	s_load_b64 s[0:1], s[0:1], 0x0
	s_sub_co_i32 s6, s2, s3
	v_cndmask_b32_e64 v36, 0, s26, vcc_lo
	s_lshr_b32 s6, s6, 1
	v_cmp_lt_u32_e32 vcc_lo, 0x34e, v0
	s_add_co_i32 s6, s6, s3
	s_add_nc_u64 s[10:11], s[24:25], s[22:23]
	s_lshr_b32 s3, s6, 6
	v_lshlrev_b64_e32 v[13:14], 3, v[36:37]
	s_mul_i32 s6, s3, 0x79
	s_wait_alu 0xfffd
	v_cndmask_b32_e64 v36, 0, s26, vcc_lo
	s_sub_co_i32 s6, s2, s6
	s_delay_alu instid0(SALU_CYCLE_1) | instskip(SKIP_2) | instid1(SALU_CYCLE_1)
	s_add_co_i32 s3, s3, s6
	s_mul_i32 s7, s6, s26
	s_mul_hi_u32 s2, s3, 0xc4f3e1ff
	s_lshr_b32 s2, s2, 10
	s_delay_alu instid0(SALU_CYCLE_1)
	s_mulk_i32 s2, 0x533
	s_wait_kmcnt 0x0
	s_mul_u64 s[0:1], s[0:1], s[20:21]
	s_sub_co_i32 s19, s3, s2
	s_wait_alu 0xfffe
	s_lshl_b64 s[0:1], s[0:1], 3
	s_mul_i32 s2, s19, s18
	s_wait_alu 0xfffe
	s_add_nc_u64 s[0:1], s[12:13], s[0:1]
	s_add_co_i32 s8, s2, s7
	s_mov_b32 s7, s9
	s_lshl_b64 s[2:3], s[8:9], 3
	s_wait_alu 0xfffe
	s_add_nc_u64 s[0:1], s[0:1], s[2:3]
	s_wait_alu 0xfffe
	v_add_co_u32 v1, vcc_lo, s0, v1
	s_wait_alu 0xfffd
	v_add_co_ci_u32_e32 v2, vcc_lo, s1, v2, vcc_lo
	v_add_co_u32 v3, vcc_lo, s0, v3
	s_wait_alu 0xfffd
	v_add_co_ci_u32_e32 v4, vcc_lo, s1, v4, vcc_lo
	;; [unrolled: 3-line block ×6, first 2 shown]
	v_mad_co_u64_u32 v[9:10], null, s17, v22, v[12:13]
	v_lshlrev_b64_e32 v[13:14], 3, v[36:37]
	s_clause 0x3
	global_load_b64 v[1:2], v[1:2], off
	global_load_b64 v[3:4], v[3:4], off
	;; [unrolled: 1-line block ×4, first 2 shown]
	v_mov_b32_e32 v12, v9
	v_add_co_u32 v9, vcc_lo, v17, v13
	s_wait_alu 0xfffd
	v_add_co_ci_u32_e32 v10, vcc_lo, v18, v14, vcc_lo
	v_cmp_lt_u32_e32 vcc_lo, 0x2d5, v0
	v_mov_b32_e32 v13, v16
	v_lshlrev_b64_e32 v[11:12], 3, v[11:12]
	v_mov_b32_e32 v16, 0x34f
	s_wait_alu 0xfffd
	v_cndmask_b32_e64 v36, 0, s26, vcc_lo
	v_cmp_gt_u32_e32 vcc_lo, 0x1e4, v0
	v_mad_co_u64_u32 v[13:14], null, s17, v19, v[13:14]
	s_wait_alu 0xfffd
	v_cndmask_b32_e32 v14, 0xfffffe1c, v16, vcc_lo
	v_add_co_u32 v17, vcc_lo, s0, v11
	s_wait_alu 0xfffd
	v_add_co_ci_u32_e32 v18, vcc_lo, s1, v12, vcc_lo
	v_lshlrev_b64_e32 v[11:12], 3, v[36:37]
	v_cmp_lt_u32_e32 vcc_lo, 0x25c, v0
	v_dual_mov_b32 v16, v13 :: v_dual_add_nc_u32 v19, v0, v14
	s_wait_alu 0xfffd
	v_cndmask_b32_e64 v36, 0, s26, vcc_lo
	s_delay_alu instid0(VALU_DEP_4) | instskip(NEXT) | instid1(VALU_DEP_3)
	v_add_co_u32 v11, vcc_lo, v17, v11
	v_lshlrev_b64_e32 v[15:16], 3, v[15:16]
	s_wait_alu 0xfffd
	v_add_co_ci_u32_e32 v12, vcc_lo, v18, v12, vcc_lo
	v_cmp_gt_u32_e32 vcc_lo, 0x16b, v0
	v_mad_co_u64_u32 v[13:14], null, s16, v19, 0
	v_lshlrev_b64_e32 v[17:18], 3, v[36:37]
	s_wait_alu 0xfffd
	v_cndmask_b32_e32 v20, 0xfffffe95, v20, vcc_lo
	v_add_co_u32 v21, vcc_lo, s0, v15
	s_wait_alu 0xfffd
	v_add_co_ci_u32_e32 v16, vcc_lo, s1, v16, vcc_lo
	v_mad_co_u64_u32 v[14:15], null, s17, v19, v[14:15]
	s_delay_alu instid0(VALU_DEP_3) | instskip(SKIP_1) | instid1(VALU_DEP_3)
	v_add_co_u32 v15, vcc_lo, v21, v17
	s_wait_alu 0xfffd
	v_add_co_ci_u32_e32 v16, vcc_lo, v16, v18, vcc_lo
	v_mov_b32_e32 v19, 0x441
	v_cmp_gt_u32_e32 vcc_lo, 0xf2, v0
	v_add_nc_u32_e32 v22, v0, v20
	v_mov_b32_e32 v20, 0x4ba
	v_lshlrev_b64_e32 v[13:14], 3, v[13:14]
	s_wait_alu 0xfffd
	v_cndmask_b32_e32 v19, 0xffffff0e, v19, vcc_lo
	v_cmp_gt_u32_e32 vcc_lo, 0x79, v0
	v_mad_co_u64_u32 v[17:18], null, s16, v22, 0
	s_delay_alu instid0(VALU_DEP_3) | instskip(SKIP_3) | instid1(VALU_DEP_2)
	v_add_nc_u32_e32 v26, v0, v19
	s_wait_alu 0xfffd
	v_cndmask_b32_e32 v20, 0xffffff87, v20, vcc_lo
	v_cmp_lt_u32_e32 vcc_lo, 0x1e3, v0
	v_add_nc_u32_e32 v27, v0, v20
	v_mad_co_u64_u32 v[19:20], null, s16, v26, 0
	s_wait_alu 0xfffd
	v_cndmask_b32_e64 v36, 0, s26, vcc_lo
	v_add_co_u32 v28, vcc_lo, s0, v13
	s_wait_alu 0xfffd
	v_add_co_ci_u32_e32 v29, vcc_lo, s1, v14, vcc_lo
	v_cmp_lt_u32_e32 vcc_lo, 0x16a, v0
	v_mad_co_u64_u32 v[21:22], null, s17, v22, v[18:19]
	v_mad_co_u64_u32 v[22:23], null, s16, v27, 0
	v_mov_b32_e32 v13, v20
	v_lshlrev_b64_e32 v[24:25], 3, v[36:37]
	s_wait_alu 0xfffd
	v_cndmask_b32_e64 v36, 0, s26, vcc_lo
	v_mov_b32_e32 v18, v21
	v_mad_co_u64_u32 v[13:14], null, s17, v26, v[13:14]
	v_mov_b32_e32 v14, v23
	v_add_co_u32 v24, vcc_lo, v28, v24
	s_delay_alu instid0(VALU_DEP_4) | instskip(SKIP_4) | instid1(VALU_DEP_4)
	v_lshlrev_b64_e32 v[17:18], 3, v[17:18]
	s_wait_alu 0xfffd
	v_add_co_ci_u32_e32 v25, vcc_lo, v29, v25, vcc_lo
	v_mad_co_u64_u32 v[26:27], null, s17, v27, v[14:15]
	v_lshlrev_b64_e32 v[27:28], 3, v[36:37]
	v_add_co_u32 v17, vcc_lo, s0, v17
	v_mov_b32_e32 v20, v13
	s_wait_alu 0xfffd
	v_add_co_ci_u32_e32 v18, vcc_lo, s1, v18, vcc_lo
	s_delay_alu instid0(VALU_DEP_3) | instskip(NEXT) | instid1(VALU_DEP_3)
	v_add_co_u32 v17, vcc_lo, v17, v27
	v_lshlrev_b64_e32 v[13:14], 3, v[19:20]
	s_wait_alu 0xfffd
	s_delay_alu instid0(VALU_DEP_3)
	v_add_co_ci_u32_e32 v18, vcc_lo, v18, v28, vcc_lo
	v_cmp_lt_u32_e32 vcc_lo, 0xf1, v0
	v_mov_b32_e32 v23, v26
	s_wait_alu 0xfffd
	v_cndmask_b32_e64 v36, 0, s26, vcc_lo
	v_add_co_u32 v21, vcc_lo, s0, v13
	s_delay_alu instid0(VALU_DEP_3)
	v_lshlrev_b64_e32 v[19:20], 3, v[22:23]
	s_wait_alu 0xfffd
	v_add_co_ci_u32_e32 v22, vcc_lo, s1, v14, vcc_lo
	v_cmp_lt_u32_e32 vcc_lo, 0x78, v0
	v_lshlrev_b64_e32 v[13:14], 3, v[36:37]
	s_wait_alu 0xfffd
	v_cndmask_b32_e64 v36, 0, s26, vcc_lo
	v_add_co_u32 v23, vcc_lo, s0, v19
	s_wait_alu 0xfffd
	v_add_co_ci_u32_e32 v26, vcc_lo, s1, v20, vcc_lo
	s_delay_alu instid0(VALU_DEP_3) | instskip(SKIP_3) | instid1(VALU_DEP_3)
	v_lshlrev_b64_e32 v[19:20], 3, v[36:37]
	v_add_co_u32 v13, vcc_lo, v21, v13
	s_wait_alu 0xfffd
	v_add_co_ci_u32_e32 v14, vcc_lo, v22, v14, vcc_lo
	v_add_co_u32 v19, vcc_lo, v23, v19
	s_wait_alu 0xfffd
	v_add_co_ci_u32_e32 v20, vcc_lo, v26, v20, vcc_lo
	s_clause 0x6
	global_load_b64 v[9:10], v[9:10], off
	global_load_b64 v[21:22], v[11:12], off
	;; [unrolled: 1-line block ×7, first 2 shown]
	v_mul_u32_u24_e32 v11, 0x21e, v0
	s_clause 0x1
	s_load_b128 s[0:3], s[24:25], 0x0
	s_load_b64 s[10:11], s[10:11], 0x0
	s_wait_kmcnt 0x0
	s_load_b32 s3, s[24:25], 0x10
	s_wait_loadcnt 0x9
	ds_store_2addr_b64 v38, v[1:2], v[3:4] offset1:121
	s_wait_loadcnt 0x7
	ds_store_2addr_b64 v42, v[5:6], v[7:8] offset0:114 offset1:235
	s_wait_loadcnt 0x5
	ds_store_2addr_b64 v41, v[9:10], v[21:22] offset0:100 offset1:221
	;; [unrolled: 2-line block ×4, first 2 shown]
	s_wait_loadcnt 0x0
	ds_store_b64 v38, v[19:20] offset:9680
	v_lshrrev_b32_e32 v11, 16, v11
	global_wb scope:SCOPE_SE
	s_wait_dscnt 0x0
	s_wait_kmcnt 0x0
	s_barrier_signal -1
	s_barrier_wait -1
	global_inv scope:SCOPE_SE
	v_mul_lo_u16 v11, 0x79, v11
	s_mul_u64 s[0:1], s[0:1], s[6:7]
	s_mul_i32 s6, s2, 0x79
	s_mul_i32 s8, s19, s3
	s_wait_alu 0xfffe
	s_lshl_b64 s[0:1], s[0:1], 3
	v_sub_nc_u16 v12, v0, v11
	s_delay_alu instid0(VALU_DEP_1) | instskip(NEXT) | instid1(VALU_DEP_1)
	v_and_b32_e32 v11, 0xffff, v12
	v_lshl_add_u32 v43, v11, 3, 0
	ds_load_2addr_b64 v[5:8], v43 offset1:121
	v_add_nc_u32_e32 v44, 0x400, v43
	s_wait_dscnt 0x0
	v_dual_add_f32 v26, v6, v8 :: v_dual_add_nc_u32 v45, 0x1c00, v43
	ds_load_b64 v[9:10], v43 offset:9680
	ds_load_2addr_b64 v[13:16], v44 offset0:114 offset1:235
	ds_load_2addr_b64 v[1:4], v45 offset0:72 offset1:193
	v_add_nc_u32_e32 v47, 0xc00, v43
	v_add_f32_e32 v25, v5, v7
	v_add_nc_u32_e32 v46, 0x1400, v43
	s_wait_dscnt 0x2
	v_dual_add_f32 v28, v10, v8 :: v_dual_add_f32 v27, v9, v7
	s_wait_dscnt 0x0
	v_add_f32_e32 v29, v3, v13
	v_sub_f32_e32 v31, v13, v3
	v_add_f32_e32 v13, v25, v13
	ds_load_2addr_b64 v[17:20], v47 offset0:100 offset1:221
	ds_load_2addr_b64 v[21:24], v46 offset0:86 offset1:207
	v_dual_sub_f32 v8, v8, v10 :: v_dual_sub_f32 v7, v7, v9
	v_add_f32_e32 v33, v1, v15
	v_dual_sub_f32 v35, v15, v1 :: v_dual_sub_f32 v36, v16, v2
	v_mul_f32_e32 v53, 0x3ed4b147, v28
	v_mul_f32_e32 v55, 0xbe11bafb, v28
	;; [unrolled: 1-line block ×3, first 2 shown]
	v_add_f32_e32 v13, v13, v15
	global_wb scope:SCOPE_SE
	s_wait_dscnt 0x0
	v_fmamk_f32 v82, v7, 0x3f68dda4, v53
	v_fmac_f32_e32 v53, 0xbf68dda4, v7
	s_barrier_signal -1
	s_barrier_wait -1
	global_inv scope:SCOPE_SE
	v_add_f32_e32 v53, v6, v53
	v_dual_sub_f32 v51, v17, v23 :: v_dual_add_f32 v30, v4, v14
	v_mul_f32_e32 v25, 0xbf0a6770, v8
	v_sub_f32_e32 v32, v14, v4
	v_add_f32_e32 v34, v2, v16
	v_add_f32_e32 v48, v23, v17
	;; [unrolled: 1-line block ×4, first 2 shown]
	v_mul_f32_e32 v52, 0xbf68dda4, v8
	v_mul_f32_e32 v54, 0xbf7d64f0, v8
	;; [unrolled: 1-line block ×5, first 2 shown]
	v_dual_mul_f32 v26, 0x3f575c64, v28 :: v_dual_mul_f32 v73, 0x3f575c64, v34
	v_dual_mul_f32 v28, 0xbf75a155, v28 :: v_dual_mul_f32 v63, 0xbf75a155, v30
	v_dual_mul_f32 v65, 0xbe11bafb, v30 :: v_dual_add_f32 v14, v14, v16
	v_dual_mul_f32 v30, 0x3f575c64, v30 :: v_dual_fmamk_f32 v15, v27, 0x3f575c64, v25
	v_mul_f32_e32 v8, 0xbe903f40, v8
	v_fmamk_f32 v81, v27, 0x3ed4b147, v52
	v_fmamk_f32 v16, v7, 0x3f0a6770, v26
	v_fmac_f32_e32 v26, 0xbf0a6770, v7
	v_add_f32_e32 v15, v5, v15
	v_fmamk_f32 v87, v27, 0xbf75a155, v8
	v_fma_f32 v8, 0xbf75a155, v27, -v8
	v_fmamk_f32 v86, v7, 0x3f4178ce, v57
	v_fmac_f32_e32 v57, 0xbf4178ce, v7
	v_sub_f32_e32 v49, v18, v24
	v_fma_f32 v52, 0x3ed4b147, v27, -v52
	v_mul_f32_e32 v69, 0xbf75a155, v34
	s_delay_alu instid0(VALU_DEP_4) | instskip(SKIP_2) | instid1(VALU_DEP_3)
	v_dual_fmamk_f32 v84, v7, 0x3f7d64f0, v55 :: v_dual_add_f32 v57, v6, v57
	v_mul_f32_e32 v71, 0x3ed4b147, v34
	v_dual_fmamk_f32 v85, v27, 0xbf27a4f4, v56 :: v_dual_add_f32 v26, v6, v26
	v_dual_add_f32 v84, v6, v84 :: v_dual_add_f32 v81, v5, v81
	v_dual_mul_f32 v67, 0xbe11bafb, v34 :: v_dual_add_f32 v16, v6, v16
	v_mul_f32_e32 v34, 0xbf27a4f4, v34
	v_mul_f32_e32 v58, 0xbf68dda4, v32
	;; [unrolled: 1-line block ×4, first 2 shown]
	v_fma_f32 v25, 0x3f575c64, v27, -v25
	v_fmac_f32_e32 v55, 0xbf7d64f0, v7
	v_mul_f32_e32 v78, 0xbf0a6770, v49
	v_fma_f32 v56, 0xbf27a4f4, v27, -v56
	v_dual_fmamk_f32 v88, v7, 0x3e903f40, v28 :: v_dual_add_f32 v85, v5, v85
	v_dual_fmamk_f32 v83, v27, 0xbe11bafb, v54 :: v_dual_add_f32 v82, v6, v82
	v_fma_f32 v54, 0xbe11bafb, v27, -v54
	v_mul_f32_e32 v64, 0x3f7d64f0, v32
	v_dual_mul_f32 v32, 0x3f0a6770, v32 :: v_dual_add_f32 v25, v5, v25
	v_mul_f32_e32 v66, 0xbf7d64f0, v36
	v_dual_mul_f32 v70, 0x3f68dda4, v36 :: v_dual_fmamk_f32 v27, v31, 0x3f68dda4, v59
	v_mul_f32_e32 v72, 0xbf0a6770, v36
	v_dual_mul_f32 v74, 0xbf4178ce, v49 :: v_dual_add_f32 v83, v5, v83
	v_dual_mul_f32 v75, 0xbf27a4f4, v50 :: v_dual_add_f32 v56, v5, v56
	v_fmac_f32_e32 v28, 0xbe903f40, v7
	v_fmac_f32_e32 v59, 0xbf68dda4, v31
	v_fmamk_f32 v90, v31, 0x3f4178ce, v61
	v_fmac_f32_e32 v61, 0xbf4178ce, v31
	v_fmamk_f32 v89, v29, 0xbf27a4f4, v60
	v_fma_f32 v60, 0xbf27a4f4, v29, -v60
	v_fmamk_f32 v94, v31, 0xbf7d64f0, v65
	v_dual_fmac_f32 v65, 0x3f7d64f0, v31 :: v_dual_add_f32 v52, v5, v52
	v_mul_f32_e32 v68, 0x3e903f40, v36
	v_mul_f32_e32 v36, 0xbf4178ce, v36
	v_fmamk_f32 v92, v31, 0xbe903f40, v63
	v_fmac_f32_e32 v63, 0x3e903f40, v31
	v_fmamk_f32 v91, v29, 0xbf75a155, v62
	v_fma_f32 v62, 0xbf75a155, v29, -v62
	v_add_f32_e32 v54, v5, v54
	v_dual_mul_f32 v80, 0xbe903f40, v49 :: v_dual_add_f32 v87, v5, v87
	v_add_f32_e32 v55, v6, v55
	v_fmamk_f32 v107, v48, 0x3f575c64, v78
	v_add_f32_e32 v5, v5, v8
	v_add_f32_e32 v8, v13, v17
	v_dual_fmamk_f32 v7, v29, 0x3ed4b147, v58 :: v_dual_add_f32 v86, v6, v86
	v_fma_f32 v58, 0x3ed4b147, v29, -v58
	v_add_f32_e32 v13, v14, v18
	v_dual_mul_f32 v77, 0xbe11bafb, v50 :: v_dual_add_f32 v88, v6, v88
	v_mul_f32_e32 v76, 0x3f7d64f0, v49
	s_delay_alu instid0(VALU_DEP_3) | instskip(NEXT) | instid1(VALU_DEP_3)
	v_dual_fmamk_f32 v98, v35, 0xbe903f40, v69 :: v_dual_add_f32 v13, v13, v20
	v_fmamk_f32 v106, v51, 0xbf7d64f0, v77
	v_fmac_f32_e32 v77, 0x3f7d64f0, v51
	s_delay_alu instid0(VALU_DEP_4)
	v_dual_fmamk_f32 v105, v48, 0xbe11bafb, v76 :: v_dual_add_f32 v14, v27, v16
	v_add_f32_e32 v7, v7, v15
	v_add_f32_e32 v15, v58, v25
	v_dual_mul_f32 v79, 0x3f575c64, v50 :: v_dual_add_f32 v6, v6, v28
	v_dual_add_f32 v16, v59, v26 :: v_dual_add_f32 v17, v89, v81
	v_dual_fmamk_f32 v93, v29, 0xbe11bafb, v64 :: v_dual_add_f32 v18, v90, v82
	v_fma_f32 v64, 0xbe11bafb, v29, -v64
	v_add_f32_e32 v25, v60, v52
	v_dual_fmamk_f32 v95, v29, 0x3f575c64, v32 :: v_dual_add_f32 v28, v92, v84
	v_fma_f32 v29, 0x3f575c64, v29, -v32
	v_fmamk_f32 v32, v35, 0x3f7d64f0, v67
	v_fmac_f32_e32 v67, 0xbf7d64f0, v35
	s_delay_alu instid0(VALU_DEP_4)
	v_dual_fmamk_f32 v99, v33, 0x3ed4b147, v70 :: v_dual_add_f32 v58, v95, v87
	v_fma_f32 v70, 0x3ed4b147, v33, -v70
	v_add_f32_e32 v26, v61, v53
	v_add_f32_e32 v52, v62, v54
	v_fmamk_f32 v104, v51, 0x3f4178ce, v75
	v_fmac_f32_e32 v75, 0xbf4178ce, v51
	v_dual_fmamk_f32 v103, v33, 0xbf27a4f4, v36 :: v_dual_add_f32 v8, v8, v19
	v_dual_add_f32 v53, v63, v55 :: v_dual_add_f32 v18, v98, v18
	v_dual_add_f32 v57, v65, v57 :: v_dual_fmamk_f32 v96, v31, 0xbf0a6770, v30
	v_dual_add_f32 v55, v94, v86 :: v_dual_fmac_f32 v30, 0x3f0a6770, v31
	v_fmamk_f32 v31, v33, 0xbe11bafb, v66
	v_fma_f32 v66, 0xbe11bafb, v33, -v66
	v_fmamk_f32 v100, v35, 0xbf68dda4, v71
	v_dual_fmac_f32 v71, 0x3f68dda4, v35 :: v_dual_add_f32 v54, v93, v85
	v_dual_fmamk_f32 v102, v35, 0x3f0a6770, v73 :: v_dual_add_f32 v13, v13, v22
	v_dual_add_f32 v27, v91, v83 :: v_dual_add_f32 v8, v8, v21
	v_fmac_f32_e32 v69, 0x3e903f40, v35
	v_dual_fmamk_f32 v97, v33, 0xbf75a155, v68 :: v_dual_add_f32 v56, v64, v56
	v_fma_f32 v68, 0xbf75a155, v33, -v68
	v_fmac_f32_e32 v73, 0xbf0a6770, v35
	v_add_f32_e32 v59, v96, v88
	v_dual_fmamk_f32 v101, v33, 0x3f575c64, v72 :: v_dual_add_f32 v6, v30, v6
	v_fma_f32 v72, 0x3f575c64, v33, -v72
	v_fma_f32 v33, 0xbf27a4f4, v33, -v36
	v_dual_fmamk_f32 v36, v35, 0x3f4178ce, v34 :: v_dual_add_f32 v17, v97, v17
	v_dual_fmac_f32 v34, 0xbf4178ce, v35 :: v_dual_add_f32 v25, v68, v25
	v_dual_add_f32 v30, v71, v53 :: v_dual_add_f32 v13, v13, v24
	v_add_f32_e32 v8, v8, v23
	v_fma_f32 v76, 0xbe11bafb, v48, -v76
	v_dual_add_f32 v5, v29, v5 :: v_dual_add_f32 v14, v32, v14
	s_delay_alu instid0(VALU_DEP_3)
	v_dual_add_f32 v6, v34, v6 :: v_dual_add_f32 v1, v8, v1
	v_dual_add_f32 v2, v13, v2 :: v_dual_fmamk_f32 v35, v48, 0xbf27a4f4, v74
	v_add_f32_e32 v16, v67, v16
	v_dual_fmamk_f32 v108, v51, 0x3f0a6770, v79 :: v_dual_add_f32 v53, v73, v57
	v_add_f32_e32 v15, v66, v15
	v_dual_add_f32 v27, v99, v27 :: v_dual_add_f32 v28, v100, v28
	v_dual_add_f32 v29, v70, v52 :: v_dual_add_f32 v36, v36, v59
	;; [unrolled: 1-line block ×3, first 2 shown]
	v_add_f32_e32 v1, v1, v3
	v_dual_add_f32 v17, v76, v25 :: v_dual_add_f32 v2, v2, v4
	v_mul_f32_e32 v3, 0xbf75a155, v50
	v_dual_add_f32 v7, v31, v7 :: v_dual_add_f32 v26, v69, v26
	v_dual_add_f32 v31, v101, v54 :: v_dual_add_f32 v8, v75, v16
	v_fmac_f32_e32 v79, 0xbf0a6770, v51
	v_dual_add_f32 v1, v1, v9 :: v_dual_add_f32 v2, v2, v10
	v_dual_fmamk_f32 v9, v51, 0x3e903f40, v3 :: v_dual_add_f32 v24, v108, v28
	v_fmac_f32_e32 v3, 0xbe903f40, v51
	v_fmamk_f32 v4, v48, 0xbf75a155, v80
	v_fma_f32 v74, 0xbf27a4f4, v48, -v74
	v_fma_f32 v78, 0x3f575c64, v48, -v78
	v_dual_add_f32 v32, v102, v55 :: v_dual_add_f32 v5, v33, v5
	v_dual_add_f32 v52, v72, v56 :: v_dual_add_f32 v7, v35, v7
	;; [unrolled: 1-line block ×3, first 2 shown]
	s_delay_alu instid0(VALU_DEP_4)
	v_dual_add_f32 v18, v77, v26 :: v_dual_add_f32 v25, v78, v29
	v_dual_add_f32 v26, v79, v30 :: v_dual_add_f32 v27, v4, v31
	v_fma_f32 v4, 0xbf75a155, v48, -v80
	v_dual_add_f32 v54, v103, v58 :: v_dual_add_f32 v15, v74, v15
	v_mul_f32_e32 v10, 0x3f68dda4, v49
	v_dual_add_f32 v28, v9, v32 :: v_dual_mul_f32 v29, 0x3ed4b147, v50
	s_delay_alu instid0(VALU_DEP_4) | instskip(SKIP_1) | instid1(VALU_DEP_4)
	v_add_f32_e32 v30, v4, v52
	v_sub_f32_e32 v32, v20, v22
	v_fmamk_f32 v9, v48, 0x3ed4b147, v10
	v_add_f32_e32 v31, v3, v53
	v_dual_fmamk_f32 v3, v51, 0xbf68dda4, v29 :: v_dual_add_f32 v34, v21, v19
	v_dual_sub_f32 v35, v19, v21 :: v_dual_add_f32 v22, v22, v20
	v_fmac_f32_e32 v29, 0x3f68dda4, v51
	v_dual_mul_f32 v4, 0xbe903f40, v32 :: v_dual_add_f32 v33, v9, v54
	v_fma_f32 v9, 0x3ed4b147, v48, -v10
	s_delay_alu instid0(VALU_DEP_4) | instskip(NEXT) | instid1(VALU_DEP_3)
	v_mul_f32_e32 v10, 0xbf75a155, v22
	v_dual_add_f32 v36, v3, v36 :: v_dual_fmamk_f32 v19, v34, 0xbf75a155, v4
	v_add_f32_e32 v6, v29, v6
	s_delay_alu instid0(VALU_DEP_3) | instskip(SKIP_1) | instid1(VALU_DEP_4)
	v_dual_add_f32 v48, v9, v5 :: v_dual_fmamk_f32 v5, v35, 0x3e903f40, v10
	v_mul_f32_e32 v9, 0x3f0a6770, v32
	v_add_f32_e32 v3, v19, v7
	v_fma_f32 v7, 0xbf75a155, v34, -v4
	v_mul_f32_e32 v21, 0xbf27a4f4, v22
	v_add_f32_e32 v4, v5, v14
	v_mul_f32_e32 v5, 0x3f575c64, v22
	s_delay_alu instid0(VALU_DEP_4) | instskip(SKIP_2) | instid1(VALU_DEP_1)
	v_add_f32_e32 v7, v7, v15
	v_fma_f32 v15, 0x3f575c64, v34, -v9
	v_fmamk_f32 v14, v34, 0x3f575c64, v9
	v_dual_fmac_f32 v10, 0xbe903f40, v35 :: v_dual_add_f32 v9, v14, v13
	s_delay_alu instid0(VALU_DEP_1) | instskip(SKIP_3) | instid1(VALU_DEP_2)
	v_add_f32_e32 v8, v10, v8
	v_fmamk_f32 v10, v35, 0xbf0a6770, v5
	v_fmac_f32_e32 v5, 0x3f0a6770, v35
	v_mul_f32_e32 v19, 0xbf4178ce, v32
	v_dual_add_f32 v13, v15, v17 :: v_dual_add_f32 v14, v5, v18
	s_delay_alu instid0(VALU_DEP_2) | instskip(SKIP_1) | instid1(VALU_DEP_2)
	v_fmamk_f32 v20, v34, 0xbf27a4f4, v19
	v_fma_f32 v17, 0xbf27a4f4, v34, -v19
	v_dual_add_f32 v15, v20, v23 :: v_dual_add_f32 v10, v10, v16
	v_mul_f32_e32 v23, 0x3ed4b147, v22
	s_delay_alu instid0(VALU_DEP_3) | instskip(SKIP_1) | instid1(VALU_DEP_3)
	v_dual_fmamk_f32 v16, v35, 0x3f4178ce, v21 :: v_dual_add_f32 v17, v17, v25
	v_fmac_f32_e32 v21, 0xbf4178ce, v35
	v_fmamk_f32 v20, v35, 0xbf68dda4, v23
	s_delay_alu instid0(VALU_DEP_3) | instskip(NEXT) | instid1(VALU_DEP_3)
	v_add_f32_e32 v16, v16, v24
	v_dual_mul_f32 v5, 0x3f68dda4, v32 :: v_dual_add_f32 v18, v21, v26
	v_mul_lo_u16 v24, 0xbb, v12
	v_mul_f32_e32 v26, 0xbe11bafb, v22
	s_delay_alu instid0(VALU_DEP_3) | instskip(SKIP_1) | instid1(VALU_DEP_1)
	v_fmamk_f32 v19, v34, 0x3ed4b147, v5
	v_fma_f32 v5, 0x3ed4b147, v34, -v5
	v_dual_add_f32 v21, v5, v30 :: v_dual_add_f32 v20, v20, v28
	s_delay_alu instid0(VALU_DEP_3) | instskip(SKIP_3) | instid1(VALU_DEP_3)
	v_add_f32_e32 v19, v19, v27
	v_lshrrev_b16 v5, 11, v24
	v_fmamk_f32 v24, v35, 0x3f7d64f0, v26
	v_fmac_f32_e32 v23, 0x3f68dda4, v35
	v_mul_lo_u16 v27, v5, 11
	s_delay_alu instid0(VALU_DEP_3) | instskip(NEXT) | instid1(VALU_DEP_3)
	v_add_f32_e32 v24, v24, v36
	v_dual_mul_f32 v25, 0xbf7d64f0, v32 :: v_dual_add_f32 v22, v23, v31
	v_and_b32_e32 v5, 0xffff, v5
	s_delay_alu instid0(VALU_DEP_4) | instskip(SKIP_1) | instid1(VALU_DEP_4)
	v_sub_nc_u16 v12, v12, v27
	v_mad_u32_u24 v27, 0x50, v11, v43
	v_fmamk_f32 v23, v34, 0xbe11bafb, v25
	v_fmac_f32_e32 v26, 0xbf7d64f0, v35
	ds_store_2addr_b64 v27, v[1:2], v[3:4] offset1:1
	ds_store_2addr_b64 v27, v[9:10], v[15:16] offset0:2 offset1:3
	v_dual_add_f32 v23, v23, v33 :: v_dual_add_f32 v26, v26, v6
	v_and_b32_e32 v6, 0xff, v12
	v_fma_f32 v25, 0xbe11bafb, v34, -v25
	s_delay_alu instid0(VALU_DEP_2) | instskip(NEXT) | instid1(VALU_DEP_2)
	v_mul_u32_u24_e32 v1, 10, v6
	v_add_f32_e32 v25, v25, v48
	s_delay_alu instid0(VALU_DEP_2)
	v_lshlrev_b32_e32 v1, 3, v1
	ds_store_2addr_b64 v27, v[19:20], v[23:24] offset0:4 offset1:5
	ds_store_2addr_b64 v27, v[25:26], v[21:22] offset0:6 offset1:7
	;; [unrolled: 1-line block ×3, first 2 shown]
	ds_store_b64 v27, v[7:8] offset:80
	global_wb scope:SCOPE_SE
	s_wait_dscnt 0x0
	s_barrier_signal -1
	s_barrier_wait -1
	global_inv scope:SCOPE_SE
	s_clause 0x4
	global_load_b128 v[14:17], v1, s[4:5]
	global_load_b128 v[25:28], v1, s[4:5] offset:16
	global_load_b128 v[29:32], v1, s[4:5] offset:32
	;; [unrolled: 1-line block ×4, first 2 shown]
	ds_load_2addr_b64 v[1:4], v43 offset1:121
	ds_load_2addr_b64 v[52:55], v44 offset0:114 offset1:235
	ds_load_2addr_b64 v[56:59], v47 offset0:100 offset1:221
	;; [unrolled: 1-line block ×4, first 2 shown]
	ds_load_b64 v[22:23], v43 offset:9680
	global_wb scope:SCOPE_SE
	s_wait_loadcnt_dscnt 0x0
	s_barrier_signal -1
	s_barrier_wait -1
	global_inv scope:SCOPE_SE
	v_dual_mul_f32 v24, v17, v53 :: v_dual_mul_f32 v19, v26, v54
	v_dual_mul_f32 v17, v17, v52 :: v_dual_mul_f32 v20, v26, v55
	;; [unrolled: 1-line block ×5, first 2 shown]
	v_mul_f32_e32 v68, v15, v4
	v_mul_f32_e32 v10, v23, v51
	v_fma_f32 v21, v25, v55, -v19
	v_fma_f32 v19, v27, v57, -v26
	v_fmac_f32_e32 v9, v66, v48
	v_dual_fmac_f32 v24, v16, v52 :: v_dual_mul_f32 v15, v15, v3
	v_mul_f32_e32 v8, v61, v32
	v_dual_mul_f32 v30, v60, v32 :: v_dual_fmac_f32 v7, v29, v58
	v_dual_mul_f32 v12, v65, v36 :: v_dual_fmac_f32 v13, v62, v33
	v_fmac_f32_e32 v68, v14, v3
	v_fmac_f32_e32 v20, v25, v54
	v_fma_f32 v3, v29, v59, -v28
	v_dual_fmac_f32 v10, v22, v50 :: v_dual_add_f32 v29, v24, v9
	s_delay_alu instid0(VALU_DEP_4)
	v_dual_mul_f32 v32, v62, v34 :: v_dual_add_f32 v25, v68, v1
	v_mul_f32_e32 v34, v64, v36
	v_mul_f32_e32 v36, v66, v49
	;; [unrolled: 1-line block ×3, first 2 shown]
	v_fma_f32 v51, v14, v4, -v15
	v_fma_f32 v52, v16, v53, -v17
	v_fmac_f32_e32 v18, v27, v56
	v_fma_f32 v4, v61, v31, -v30
	v_fma_f32 v14, v23, v50, -v49
	;; [unrolled: 1-line block ×3, first 2 shown]
	s_delay_alu instid0(VALU_DEP_3) | instskip(NEXT) | instid1(VALU_DEP_3)
	v_dual_fmac_f32 v12, v64, v35 :: v_dual_sub_f32 v53, v3, v4
	v_add_f32_e32 v27, v51, v14
	v_fma_f32 v16, v65, v35, -v34
	s_delay_alu instid0(VALU_DEP_4) | instskip(NEXT) | instid1(VALU_DEP_3)
	v_sub_f32_e32 v49, v19, v17
	v_dual_sub_f32 v28, v51, v14 :: v_dual_mul_f32 v57, 0xbe11bafb, v27
	v_mul_f32_e32 v55, 0x3ed4b147, v27
	v_fmac_f32_e32 v8, v60, v31
	v_sub_f32_e32 v31, v24, v9
	v_add_f32_e32 v33, v20, v12
	v_sub_f32_e32 v23, v68, v10
	v_fma_f32 v15, v67, v48, -v36
	v_dual_add_f32 v26, v51, v2 :: v_dual_sub_f32 v35, v20, v12
	v_sub_f32_e32 v36, v21, v16
	v_add_f32_e32 v22, v68, v10
	s_delay_alu instid0(VALU_DEP_4)
	v_add_f32_e32 v30, v52, v15
	v_dual_add_f32 v34, v21, v16 :: v_dual_mul_f32 v59, 0xbf27a4f4, v27
	v_mul_f32_e32 v54, 0xbf68dda4, v28
	v_mul_f32_e32 v56, 0xbf7d64f0, v28
	;; [unrolled: 1-line block ×3, first 2 shown]
	v_dual_mul_f32 v69, 0x3e903f40, v36 :: v_dual_sub_f32 v32, v52, v15
	v_dual_mul_f32 v61, 0x3ed4b147, v30 :: v_dual_add_f32 v50, v19, v17
	v_dual_mul_f32 v65, 0xbf75a155, v30 :: v_dual_add_f32 v24, v25, v24
	v_mul_f32_e32 v67, 0xbe11bafb, v30
	v_add_f32_e32 v25, v26, v52
	v_mul_f32_e32 v26, 0xbf0a6770, v28
	v_dual_mul_f32 v52, 0x3f575c64, v27 :: v_dual_mul_f32 v75, 0x3f575c64, v34
	v_mul_f32_e32 v27, 0xbf75a155, v27
	v_mul_f32_e32 v28, 0xbe903f40, v28
	v_dual_add_f32 v48, v18, v13 :: v_dual_mul_f32 v63, 0xbf27a4f4, v30
	v_mul_f32_e32 v60, 0xbf68dda4, v32
	v_mul_f32_e32 v62, 0xbf4178ce, v32
	v_dual_mul_f32 v64, 0x3e903f40, v32 :: v_dual_fmamk_f32 v91, v23, 0x3e903f40, v27
	v_dual_mul_f32 v66, 0x3f7d64f0, v32 :: v_dual_fmamk_f32 v87, v23, 0x3f7d64f0, v57
	v_mul_f32_e32 v32, 0x3f0a6770, v32
	v_dual_mul_f32 v73, 0xbf75a155, v34 :: v_dual_add_f32 v20, v24, v20
	v_add_f32_e32 v21, v25, v21
	v_dual_mul_f32 v81, 0x3f575c64, v50 :: v_dual_fmamk_f32 v24, v22, 0x3f575c64, v26
	v_fmamk_f32 v25, v23, 0x3f0a6770, v52
	v_fma_f32 v26, 0x3f575c64, v22, -v26
	v_fmamk_f32 v85, v23, 0x3f68dda4, v55
	v_fmac_f32_e32 v52, 0xbf0a6770, v23
	v_fmac_f32_e32 v55, 0xbf68dda4, v23
	v_fmamk_f32 v84, v22, 0x3ed4b147, v54
	v_fma_f32 v54, 0x3ed4b147, v22, -v54
	v_fmac_f32_e32 v57, 0xbf7d64f0, v23
	v_dual_mul_f32 v79, 0xbe11bafb, v50 :: v_dual_fmamk_f32 v86, v22, 0xbe11bafb, v56
	v_fma_f32 v56, 0xbe11bafb, v22, -v56
	v_dual_fmamk_f32 v89, v23, 0x3f4178ce, v59 :: v_dual_add_f32 v24, v24, v1
	v_fmac_f32_e32 v59, 0xbf4178ce, v23
	v_dual_mul_f32 v77, 0xbf27a4f4, v50 :: v_dual_fmamk_f32 v88, v22, 0xbf27a4f4, v58
	v_fma_f32 v58, 0xbf27a4f4, v22, -v58
	v_fmac_f32_e32 v27, 0xbe903f40, v23
	v_dual_mul_f32 v83, 0xbf75a155, v50 :: v_dual_fmamk_f32 v90, v22, 0xbf75a155, v28
	v_fma_f32 v22, 0xbf75a155, v22, -v28
	v_dual_fmamk_f32 v28, v31, 0x3f68dda4, v61 :: v_dual_add_f32 v57, v57, v2
	v_fmac_f32_e32 v61, 0xbf68dda4, v31
	v_dual_mul_f32 v74, 0x3ed4b147, v34 :: v_dual_fmamk_f32 v23, v29, 0x3ed4b147, v60
	v_dual_sub_f32 v51, v18, v13 :: v_dual_mul_f32 v68, 0xbf7d64f0, v36
	v_fmamk_f32 v97, v31, 0xbf7d64f0, v67
	v_mul_f32_e32 v70, 0x3f68dda4, v36
	v_dual_mul_f32 v71, 0xbf0a6770, v36 :: v_dual_mul_f32 v80, 0xbf0a6770, v49
	v_mul_f32_e32 v30, 0x3f575c64, v30
	v_mul_f32_e32 v36, 0xbf4178ce, v36
	;; [unrolled: 1-line block ×3, first 2 shown]
	v_dual_mul_f32 v76, 0xbf4178ce, v49 :: v_dual_add_f32 v25, v25, v2
	v_mul_f32_e32 v34, 0xbf27a4f4, v34
	v_dual_mul_f32 v78, 0x3f7d64f0, v49 :: v_dual_fmac_f32 v67, 0x3f7d64f0, v31
	v_dual_mul_f32 v82, 0xbe903f40, v49 :: v_dual_fmamk_f32 v95, v31, 0xbe903f40, v65
	v_fma_f32 v60, 0x3ed4b147, v29, -v60
	v_dual_fmamk_f32 v93, v31, 0x3f4178ce, v63 :: v_dual_add_f32 v26, v26, v1
	v_fmac_f32_e32 v63, 0xbf4178ce, v31
	v_dual_fmamk_f32 v92, v29, 0xbf27a4f4, v62 :: v_dual_add_f32 v87, v87, v2
	v_dual_fmamk_f32 v104, v35, 0xbf68dda4, v74 :: v_dual_add_f32 v89, v89, v2
	v_dual_fmac_f32 v74, 0x3f68dda4, v35 :: v_dual_add_f32 v85, v85, v2
	v_dual_fmac_f32 v65, 0x3e903f40, v31 :: v_dual_add_f32 v52, v52, v2
	v_add_f32_e32 v55, v55, v2
	v_dual_fmamk_f32 v103, v35, 0xbe903f40, v73 :: v_dual_add_f32 v84, v84, v1
	v_mul_f32_e32 v49, 0x3f68dda4, v49
	v_fma_f32 v62, 0xbf27a4f4, v29, -v62
	v_dual_fmamk_f32 v94, v29, 0xbf75a155, v64 :: v_dual_add_f32 v59, v59, v2
	v_fma_f32 v64, 0xbf75a155, v29, -v64
	v_dual_fmamk_f32 v96, v29, 0xbe11bafb, v66 :: v_dual_add_f32 v91, v91, v2
	v_fma_f32 v66, 0xbe11bafb, v29, -v66
	v_fmamk_f32 v98, v29, 0x3f575c64, v32
	v_fma_f32 v29, 0x3f575c64, v29, -v32
	v_dual_fmamk_f32 v99, v33, 0xbf75a155, v69 :: v_dual_fmamk_f32 v112, v48, 0xbf75a155, v82
	v_fmamk_f32 v100, v33, 0x3ed4b147, v70
	v_fmamk_f32 v101, v33, 0x3f575c64, v71
	;; [unrolled: 1-line block ×3, first 2 shown]
	v_dual_fmac_f32 v30, 0x3f0a6770, v31 :: v_dual_fmamk_f32 v105, v35, 0x3f0a6770, v75
	v_fmamk_f32 v31, v33, 0xbe11bafb, v68
	v_fma_f32 v68, 0xbe11bafb, v33, -v68
	v_dual_fmac_f32 v73, 0x3e903f40, v35 :: v_dual_add_f32 v54, v54, v1
	v_dual_fmamk_f32 v106, v35, 0x3f4178ce, v34 :: v_dual_add_f32 v19, v21, v19
	v_dual_fmamk_f32 v107, v51, 0x3f4178ce, v77 :: v_dual_add_f32 v86, v86, v1
	v_fmac_f32_e32 v77, 0xbf4178ce, v51
	v_fmamk_f32 v102, v33, 0xbf27a4f4, v36
	v_fmamk_f32 v108, v48, 0xbe11bafb, v78
	;; [unrolled: 1-line block ×3, first 2 shown]
	v_add_f32_e32 v21, v28, v25
	v_add_f32_e32 v25, v92, v84
	;; [unrolled: 1-line block ×3, first 2 shown]
	v_dual_add_f32 v20, v23, v24 :: v_dual_add_f32 v23, v60, v26
	v_add_f32_e32 v24, v61, v52
	v_dual_add_f32 v61, v97, v89 :: v_dual_add_f32 v52, v63, v55
	v_dual_add_f32 v55, v95, v87 :: v_dual_mul_f32 v50, 0x3ed4b147, v50
	v_fma_f32 v69, 0xbf75a155, v33, -v69
	v_dual_fmamk_f32 v111, v51, 0x3f0a6770, v81 :: v_dual_add_f32 v56, v56, v1
	v_dual_fmac_f32 v81, 0xbf0a6770, v51 :: v_dual_add_f32 v88, v88, v1
	v_add_f32_e32 v58, v58, v1
	v_dual_add_f32 v90, v90, v1 :: v_dual_add_f32 v59, v67, v59
	v_dual_add_f32 v1, v22, v1 :: v_dual_add_f32 v2, v27, v2
	v_fma_f32 v27, 0xbf75a155, v48, -v82
	v_dual_fmamk_f32 v82, v48, 0x3ed4b147, v49 :: v_dual_add_f32 v19, v19, v3
	v_dual_add_f32 v26, v93, v85 :: v_dual_add_f32 v23, v68, v23
	v_dual_add_f32 v20, v31, v20 :: v_dual_add_f32 v31, v104, v55
	;; [unrolled: 1-line block ×3, first 2 shown]
	v_fma_f32 v70, 0x3ed4b147, v33, -v70
	v_fma_f32 v71, 0x3f575c64, v33, -v71
	;; [unrolled: 1-line block ×3, first 2 shown]
	v_fmamk_f32 v36, v35, 0x3f7d64f0, v72
	v_dual_fmac_f32 v72, 0xbf7d64f0, v35 :: v_dual_fmamk_f32 v109, v51, 0xbf7d64f0, v79
	v_fma_f32 v78, 0xbe11bafb, v48, -v78
	v_add_f32_e32 v1, v29, v1
	v_add_f32_e32 v25, v99, v25
	;; [unrolled: 1-line block ×7, first 2 shown]
	v_fmac_f32_e32 v75, 0xbf0a6770, v35
	v_dual_fmac_f32 v34, 0xbf4178ce, v35 :: v_dual_add_f32 v57, v65, v57
	s_delay_alu instid0(VALU_DEP_3) | instskip(SKIP_2) | instid1(VALU_DEP_3)
	v_dual_fmamk_f32 v35, v48, 0xbf27a4f4, v76 :: v_dual_add_f32 v18, v18, v8
	v_dual_add_f32 v56, v64, v56 :: v_dual_add_f32 v33, v33, v1
	v_dual_add_f32 v60, v96, v88 :: v_dual_fmac_f32 v79, 0x3f7d64f0, v51
	v_add_f32_e32 v1, v18, v13
	v_add_f32_e32 v2, v30, v2
	v_fma_f32 v80, 0x3f575c64, v48, -v80
	v_dual_fmamk_f32 v22, v51, 0x3e903f40, v83 :: v_dual_add_f32 v21, v36, v21
	v_dual_fmac_f32 v83, 0xbe903f40, v51 :: v_dual_add_f32 v58, v66, v58
	v_add_f32_e32 v13, v35, v20
	v_add_f32_e32 v36, v70, v56
	v_dual_add_f32 v1, v1, v12 :: v_dual_add_f32 v34, v34, v2
	v_add_f32_e32 v2, v19, v17
	v_dual_add_f32 v62, v98, v90 :: v_dual_add_f32 v17, v107, v21
	s_delay_alu instid0(VALU_DEP_3)
	v_dual_add_f32 v24, v72, v24 :: v_dual_add_f32 v1, v1, v9
	v_add_f32_e32 v32, v32, v91
	v_dual_add_f32 v52, v74, v57 :: v_dual_add_f32 v35, v7, v8
	v_dual_add_f32 v2, v2, v16 :: v_dual_fmamk_f32 v9, v51, 0xbf68dda4, v50
	v_add_f32_e32 v16, v80, v36
	v_add_f32_e32 v36, v3, v4
	v_mul_f32_e32 v4, 0xbe903f40, v53
	v_fma_f32 v76, 0xbf27a4f4, v48, -v76
	v_dual_add_f32 v54, v94, v86 :: v_dual_add_f32 v57, v75, v59
	v_add_f32_e32 v19, v77, v24
	v_fma_f32 v3, 0x3ed4b147, v48, -v49
	v_add_f32_e32 v32, v106, v32
	v_sub_f32_e32 v48, v7, v8
	v_mul_f32_e32 v8, 0xbf75a155, v36
	v_add_f32_e32 v56, v71, v58
	v_dual_add_f32 v58, v102, v62 :: v_dual_fmamk_f32 v7, v35, 0xbf75a155, v4
	v_add_f32_e32 v1, v1, v10
	v_dual_add_f32 v33, v3, v33 :: v_dual_add_f32 v32, v9, v32
	v_fmamk_f32 v9, v48, 0x3e903f40, v8
	v_dual_add_f32 v30, v100, v54 :: v_dual_add_f32 v27, v27, v56
	v_dual_add_f32 v54, v101, v60 :: v_dual_add_f32 v3, v7, v13
	v_mul_f32_e32 v10, 0x3f0a6770, v53
	v_add_f32_e32 v18, v76, v23
	v_fma_f32 v7, 0xbf75a155, v35, -v4
	v_dual_add_f32 v4, v9, v17 :: v_dual_mul_f32 v13, 0x3f575c64, v36
	s_delay_alu instid0(VALU_DEP_4) | instskip(NEXT) | instid1(VALU_DEP_3)
	v_dual_add_f32 v2, v2, v15 :: v_dual_fmamk_f32 v9, v35, 0x3f575c64, v10
	v_dual_add_f32 v20, v108, v25 :: v_dual_add_f32 v7, v7, v18
	v_dual_add_f32 v24, v79, v29 :: v_dual_add_f32 v29, v112, v54
	v_add_f32_e32 v23, v78, v28
	s_delay_alu instid0(VALU_DEP_3)
	v_add_f32_e32 v9, v9, v20
	v_dual_add_f32 v21, v109, v26 :: v_dual_add_f32 v26, v111, v31
	v_mul_f32_e32 v15, 0xbf4178ce, v53
	v_dual_add_f32 v31, v82, v58 :: v_dual_fmac_f32 v8, 0xbe903f40, v48
	v_dual_add_f32 v25, v110, v30 :: v_dual_fmamk_f32 v12, v48, 0xbf0a6770, v13
	v_fmac_f32_e32 v13, 0x3f0a6770, v48
	s_delay_alu instid0(VALU_DEP_3)
	v_dual_fmamk_f32 v17, v35, 0xbf27a4f4, v15 :: v_dual_add_f32 v8, v8, v19
	v_mul_f32_e32 v18, 0xbf27a4f4, v36
	v_dual_mul_f32 v19, 0x3f68dda4, v53 :: v_dual_add_f32 v2, v2, v14
	v_fma_f32 v14, 0x3f575c64, v35, -v10
	v_add_f32_e32 v28, v81, v52
	v_add_f32_e32 v10, v12, v21
	v_fma_f32 v20, 0xbf27a4f4, v35, -v15
	v_dual_add_f32 v22, v22, v55 :: v_dual_add_f32 v13, v13, v24
	v_add_f32_e32 v12, v14, v23
	v_dual_add_f32 v14, v17, v25 :: v_dual_fmamk_f32 v17, v48, 0x3f4178ce, v18
	v_fmac_f32_e32 v18, 0xbf4178ce, v48
	v_dual_fmamk_f32 v23, v35, 0x3ed4b147, v19 :: v_dual_add_f32 v16, v20, v16
	s_delay_alu instid0(VALU_DEP_3) | instskip(SKIP_1) | instid1(VALU_DEP_3)
	v_dual_add_f32 v15, v17, v26 :: v_dual_add_f32 v30, v83, v57
	v_mul_f32_e32 v21, 0x3ed4b147, v36
	v_dual_add_f32 v17, v18, v28 :: v_dual_add_f32 v18, v23, v29
	v_fma_f32 v23, 0x3ed4b147, v35, -v19
	v_mul_f32_e32 v24, 0xbe11bafb, v36
	s_delay_alu instid0(VALU_DEP_4) | instskip(SKIP_1) | instid1(VALU_DEP_2)
	v_fmamk_f32 v20, v48, 0xbf68dda4, v21
	v_mul_u32_u24_e32 v26, 0x3c8, v5
	v_dual_add_f32 v19, v20, v22 :: v_dual_fmac_f32 v50, 0x3f68dda4, v51
	v_fmac_f32_e32 v21, 0x3f68dda4, v48
	v_mul_f32_e32 v22, 0xbf7d64f0, v53
	v_dual_add_f32 v20, v23, v27 :: v_dual_fmamk_f32 v25, v48, 0x3f7d64f0, v24
	s_delay_alu instid0(VALU_DEP_4) | instskip(SKIP_1) | instid1(VALU_DEP_4)
	v_add_f32_e32 v34, v50, v34
	v_fmac_f32_e32 v24, 0xbf7d64f0, v48
	v_fmamk_f32 v23, v35, 0xbe11bafb, v22
	v_lshlrev_b32_e32 v27, 3, v6
	v_fma_f32 v22, 0xbe11bafb, v35, -v22
	v_add_f32_e32 v6, v25, v32
	v_add_f32_e32 v21, v21, v30
	;; [unrolled: 1-line block ×4, first 2 shown]
	v_add3_u32 v24, 0, v26, v27
	ds_store_2addr_b64 v24, v[1:2], v[3:4] offset1:11
	ds_store_2addr_b64 v24, v[9:10], v[14:15] offset0:22 offset1:33
	v_mul_u32_u24_e32 v1, 10, v11
	v_add_f32_e32 v22, v22, v33
	s_delay_alu instid0(VALU_DEP_2)
	v_lshlrev_b32_e32 v1, 3, v1
	ds_store_2addr_b64 v24, v[18:19], v[5:6] offset0:44 offset1:55
	ds_store_2addr_b64 v24, v[22:23], v[20:21] offset0:66 offset1:77
	;; [unrolled: 1-line block ×3, first 2 shown]
	ds_store_b64 v24, v[7:8] offset:880
	global_wb scope:SCOPE_SE
	s_wait_dscnt 0x0
	s_barrier_signal -1
	s_barrier_wait -1
	global_inv scope:SCOPE_SE
	s_clause 0x4
	global_load_b128 v[17:20], v1, s[4:5] offset:880
	global_load_b128 v[13:16], v1, s[4:5] offset:896
	global_load_b128 v[9:12], v1, s[4:5] offset:912
	global_load_b128 v[5:8], v1, s[4:5] offset:928
	global_load_b128 v[21:24], v1, s[4:5] offset:944
	ds_load_2addr_b64 v[1:4], v43 offset1:121
	ds_load_2addr_b64 v[33:36], v44 offset0:114 offset1:235
	ds_load_2addr_b64 v[29:32], v47 offset0:100 offset1:221
	ds_load_2addr_b64 v[25:28], v46 offset0:86 offset1:207
	ds_load_2addr_b64 v[48:51], v45 offset0:72 offset1:193
	ds_load_b64 v[52:53], v43 offset:9680
	s_mul_u64 s[4:5], s[10:11], s[20:21]
	global_wb scope:SCOPE_SE
	s_wait_loadcnt_dscnt 0x0
	s_barrier_signal -1
	s_barrier_wait -1
	global_inv scope:SCOPE_SE
	s_lshl_b64 s[4:5], s[4:5], 3
	s_delay_alu instid0(SALU_CYCLE_1)
	s_add_nc_u64 s[4:5], s[14:15], s[4:5]
	s_wait_alu 0xfffe
	s_add_nc_u64 s[0:1], s[4:5], s[0:1]
	v_mul_f32_e32 v55, v20, v34
	v_mul_f32_e32 v57, v16, v30
	v_dual_mul_f32 v59, v26, v12 :: v_dual_mul_f32 v60, v28, v6
	v_mul_f32_e32 v6, v27, v6
	s_delay_alu instid0(VALU_DEP_4)
	v_dual_fmac_f32 v55, v19, v33 :: v_dual_mul_f32 v58, v10, v32
	v_mul_f32_e32 v61, v49, v8
	v_mul_f32_e32 v8, v48, v8
	;; [unrolled: 1-line block ×3, first 2 shown]
	v_dual_mul_f32 v22, v50, v22 :: v_dual_fmac_f32 v57, v15, v29
	v_fmac_f32_e32 v58, v9, v31
	v_fmac_f32_e32 v59, v25, v11
	v_mul_f32_e32 v12, v25, v12
	v_fmac_f32_e32 v60, v27, v5
	v_mul_f32_e32 v10, v10, v31
	v_mul_f32_e32 v16, v16, v29
	v_fma_f32 v5, v28, v5, -v6
	v_fma_f32 v6, v49, v7, -v8
	;; [unrolled: 1-line block ×3, first 2 shown]
	v_sub_f32_e32 v29, v57, v60
	v_fma_f32 v9, v9, v32, -v10
	v_sub_f32_e32 v31, v58, v59
	v_fma_f32 v10, v26, v11, -v12
	v_mul_f32_e32 v56, v14, v36
	v_dual_mul_f32 v14, v14, v35 :: v_dual_mul_f32 v63, v53, v24
	v_mul_f32_e32 v24, v52, v24
	v_fmac_f32_e32 v61, v48, v7
	s_delay_alu instid0(VALU_DEP_4) | instskip(NEXT) | instid1(VALU_DEP_4)
	v_fmac_f32_e32 v56, v13, v35
	v_fma_f32 v13, v13, v36, -v14
	v_mul_f32_e32 v54, v18, v4
	v_mul_f32_e32 v18, v18, v3
	;; [unrolled: 1-line block ×3, first 2 shown]
	v_fmac_f32_e32 v63, v52, v23
	v_sub_f32_e32 v25, v13, v6
	v_fma_f32 v7, v53, v23, -v24
	v_add_f32_e32 v23, v13, v6
	v_fmac_f32_e32 v54, v17, v3
	v_fma_f32 v3, v17, v4, -v18
	v_fma_f32 v4, v19, v34, -v20
	v_add_f32_e32 v33, v9, v10
	v_mul_f32_e32 v71, 0xbf75a155, v23
	v_add_f32_e32 v11, v54, v1
	v_sub_f32_e32 v17, v54, v63
	v_dual_add_f32 v19, v4, v8 :: v_dual_add_f32 v12, v3, v2
	v_mul_f32_e32 v69, 0xbe11bafb, v23
	s_delay_alu instid0(VALU_DEP_4) | instskip(NEXT) | instid1(VALU_DEP_3)
	v_dual_add_f32 v11, v11, v55 :: v_dual_mul_f32 v74, 0xbf0a6770, v25
	v_mul_f32_e32 v65, 0xbf75a155, v19
	v_add_f32_e32 v27, v57, v60
	v_fma_f32 v14, v15, v30, -v16
	v_add_f32_e32 v15, v54, v63
	v_mul_f32_e32 v53, 0x3ed4b147, v19
	v_mul_f32_e32 v67, 0xbe11bafb, v19
	;; [unrolled: 1-line block ×3, first 2 shown]
	v_sub_f32_e32 v26, v14, v5
	v_add_f32_e32 v16, v3, v7
	v_sub_f32_e32 v3, v3, v7
	v_mul_f32_e32 v73, 0x3ed4b147, v23
	v_mul_f32_e32 v75, 0x3f575c64, v23
	;; [unrolled: 1-line block ×3, first 2 shown]
	v_dual_mul_f32 v51, 0xbf27a4f4, v16 :: v_dual_fmac_f32 v62, v50, v21
	v_sub_f32_e32 v21, v4, v8
	v_mul_f32_e32 v35, 0xbf68dda4, v3
	v_mul_f32_e32 v49, 0xbe11bafb, v16
	;; [unrolled: 1-line block ×3, first 2 shown]
	v_add_f32_e32 v18, v55, v62
	v_sub_f32_e32 v20, v55, v62
	v_mul_f32_e32 v50, 0xbf4178ce, v3
	v_mul_f32_e32 v52, 0xbf68dda4, v21
	;; [unrolled: 1-line block ×3, first 2 shown]
	v_dual_mul_f32 v19, 0x3f575c64, v19 :: v_dual_add_f32 v4, v12, v4
	v_mul_f32_e32 v12, 0xbf0a6770, v3
	v_mul_f32_e32 v3, 0xbe903f40, v3
	;; [unrolled: 1-line block ×4, first 2 shown]
	v_dual_mul_f32 v66, 0x3f7d64f0, v21 :: v_dual_fmamk_f32 v89, v17, 0x3f7d64f0, v49
	v_dual_mul_f32 v68, 0xbf7d64f0, v25 :: v_dual_fmamk_f32 v99, v20, 0xbf7d64f0, v67
	v_mul_f32_e32 v70, 0x3e903f40, v25
	v_dual_add_f32 v4, v4, v13 :: v_dual_fmamk_f32 v91, v17, 0x3f4178ce, v51
	v_fmamk_f32 v13, v15, 0x3f575c64, v12
	v_fma_f32 v12, 0x3f575c64, v15, -v12
	v_fmac_f32_e32 v49, 0xbf7d64f0, v17
	v_fmamk_f32 v86, v15, 0x3ed4b147, v35
	v_fma_f32 v35, 0x3ed4b147, v15, -v35
	v_fmamk_f32 v88, v15, 0xbe11bafb, v48
	v_fma_f32 v48, 0xbe11bafb, v15, -v48
	v_fmac_f32_e32 v51, 0xbf4178ce, v17
	v_fmamk_f32 v90, v15, 0xbf27a4f4, v50
	v_fma_f32 v50, 0xbf27a4f4, v15, -v50
	v_fmamk_f32 v92, v15, 0xbf75a155, v3
	v_fma_f32 v3, 0xbf75a155, v15, -v3
	v_fmamk_f32 v15, v18, 0x3ed4b147, v52
	v_dual_mul_f32 v72, 0x3f68dda4, v25 :: v_dual_fmamk_f32 v87, v17, 0x3f68dda4, v36
	v_mul_f32_e32 v25, 0xbf4178ce, v25
	v_dual_add_f32 v28, v14, v5 :: v_dual_add_f32 v11, v11, v56
	v_sub_f32_e32 v32, v9, v10
	v_add_f32_e32 v22, v56, v61
	s_delay_alu instid0(VALU_DEP_3) | instskip(SKIP_1) | instid1(VALU_DEP_4)
	v_dual_sub_f32 v24, v56, v61 :: v_dual_mul_f32 v83, 0xbf75a155, v28
	v_fmamk_f32 v56, v17, 0x3f0a6770, v34
	v_dual_mul_f32 v84, 0xbe903f40, v32 :: v_dual_fmamk_f32 v97, v20, 0xbe903f40, v65
	v_dual_fmac_f32 v34, 0xbf0a6770, v17 :: v_dual_add_f32 v89, v89, v2
	v_fmac_f32_e32 v65, 0x3e903f40, v20
	v_dual_mul_f32 v16, 0xbf75a155, v16 :: v_dual_fmamk_f32 v101, v22, 0xbf75a155, v70
	v_mul_f32_e32 v54, 0xbf4178ce, v21
	v_mul_f32_e32 v64, 0x3e903f40, v21
	;; [unrolled: 1-line block ×3, first 2 shown]
	s_delay_alu instid0(VALU_DEP_4)
	v_fmamk_f32 v93, v17, 0x3e903f40, v16
	v_mul_f32_e32 v23, 0xbf27a4f4, v23
	v_mul_f32_e32 v76, 0xbf4178ce, v26
	;; [unrolled: 1-line block ×3, first 2 shown]
	v_dual_mul_f32 v78, 0xbf0a6770, v26 :: v_dual_add_f32 v13, v13, v1
	v_mul_f32_e32 v26, 0x3f68dda4, v26
	v_dual_fmac_f32 v36, 0xbf68dda4, v17 :: v_dual_add_f32 v91, v91, v2
	v_dual_fmac_f32 v16, 0xbe903f40, v17 :: v_dual_fmamk_f32 v105, v24, 0xbe903f40, v71
	v_fmamk_f32 v17, v20, 0x3f68dda4, v53
	v_fmac_f32_e32 v53, 0xbf68dda4, v20
	v_dual_fmamk_f32 v95, v20, 0x3f4178ce, v55 :: v_dual_add_f32 v34, v34, v2
	v_fma_f32 v52, 0x3ed4b147, v18, -v52
	v_fmac_f32_e32 v55, 0xbf4178ce, v20
	v_dual_fmamk_f32 v94, v18, 0xbf27a4f4, v54 :: v_dual_add_f32 v51, v51, v2
	v_fma_f32 v54, 0xbf27a4f4, v18, -v54
	v_dual_fmamk_f32 v96, v18, 0xbf75a155, v64 :: v_dual_fmamk_f32 v111, v27, 0xbf75a155, v79
	v_fma_f32 v64, 0xbf75a155, v18, -v64
	v_dual_fmamk_f32 v98, v18, 0xbe11bafb, v66 :: v_dual_fmamk_f32 v109, v27, 0xbe11bafb, v77
	v_fma_f32 v66, 0xbe11bafb, v18, -v66
	v_fmamk_f32 v100, v18, 0x3f575c64, v21
	v_fma_f32 v18, 0x3f575c64, v18, -v21
	v_fmamk_f32 v21, v20, 0xbf0a6770, v19
	v_fmac_f32_e32 v19, 0x3f0a6770, v20
	v_dual_fmac_f32 v67, 0x3f7d64f0, v20 :: v_dual_add_f32 v56, v56, v2
	v_dual_fmamk_f32 v20, v22, 0xbe11bafb, v68 :: v_dual_add_f32 v11, v11, v57
	v_dual_fmamk_f32 v102, v22, 0x3ed4b147, v72 :: v_dual_add_f32 v13, v15, v13
	v_add_f32_e32 v15, v53, v34
	v_dual_fmamk_f32 v107, v24, 0x3f0a6770, v75 :: v_dual_add_f32 v90, v90, v1
	v_fmac_f32_e32 v75, 0xbf0a6770, v24
	v_dual_mul_f32 v82, 0x3f575c64, v28 :: v_dual_fmamk_f32 v103, v22, 0x3f575c64, v74
	v_dual_add_f32 v30, v58, v59 :: v_dual_mul_f32 v81, 0xbe11bafb, v28
	v_dual_mul_f32 v80, 0xbf27a4f4, v28 :: v_dual_add_f32 v87, v87, v2
	v_dual_mul_f32 v28, 0x3ed4b147, v28 :: v_dual_add_f32 v35, v35, v1
	v_fma_f32 v68, 0xbe11bafb, v22, -v68
	v_fma_f32 v70, 0xbf75a155, v22, -v70
	v_fma_f32 v72, 0x3ed4b147, v22, -v72
	v_fma_f32 v74, 0x3f575c64, v22, -v74
	v_dual_fmamk_f32 v104, v22, 0xbf27a4f4, v25 :: v_dual_add_f32 v53, v97, v89
	v_fma_f32 v22, 0xbf27a4f4, v22, -v25
	v_dual_fmac_f32 v71, 0x3e903f40, v24 :: v_dual_add_f32 v36, v36, v2
	v_add_f32_e32 v49, v49, v2
	v_dual_fmamk_f32 v25, v24, 0x3f7d64f0, v69 :: v_dual_add_f32 v86, v86, v1
	v_dual_add_f32 v50, v50, v1 :: v_dual_fmamk_f32 v113, v29, 0x3e903f40, v83
	v_add_f32_e32 v93, v93, v2
	v_add_f32_e32 v2, v16, v2
	v_dual_fmamk_f32 v16, v29, 0x3f0a6770, v82 :: v_dual_add_f32 v51, v67, v51
	v_dual_fmac_f32 v82, 0xbf0a6770, v29 :: v_dual_add_f32 v11, v11, v58
	v_dual_fmac_f32 v83, 0xbe903f40, v29 :: v_dual_add_f32 v4, v4, v14
	;; [unrolled: 1-line block ×3, first 2 shown]
	v_fmamk_f32 v106, v24, 0xbf68dda4, v73
	v_dual_fmac_f32 v73, 0x3f68dda4, v24 :: v_dual_add_f32 v88, v88, v1
	v_fmamk_f32 v108, v24, 0x3f4178ce, v23
	v_fmac_f32_e32 v23, 0xbf4178ce, v24
	v_dual_fmamk_f32 v24, v27, 0xbf27a4f4, v76 :: v_dual_add_f32 v35, v54, v35
	v_add_f32_e32 v48, v48, v1
	v_dual_add_f32 v92, v92, v1 :: v_dual_fmamk_f32 v57, v31, 0x3e903f40, v85
	v_dual_add_f32 v1, v3, v1 :: v_dual_fmamk_f32 v114, v29, 0xbf68dda4, v28
	v_dual_fmac_f32 v28, 0x3f68dda4, v29 :: v_dual_add_f32 v11, v11, v59
	v_dual_add_f32 v14, v17, v56 :: v_dual_add_f32 v17, v94, v86
	v_add_f32_e32 v34, v95, v87
	v_add_f32_e32 v36, v55, v36
	s_delay_alu instid0(VALU_DEP_4)
	v_dual_add_f32 v4, v4, v9 :: v_dual_add_f32 v11, v11, v60
	v_fma_f32 v76, 0xbf27a4f4, v27, -v76
	v_fma_f32 v77, 0xbe11bafb, v27, -v77
	v_dual_fmamk_f32 v110, v27, 0x3f575c64, v78 :: v_dual_add_f32 v49, v65, v49
	v_fma_f32 v78, 0x3f575c64, v27, -v78
	v_fma_f32 v79, 0xbf75a155, v27, -v79
	v_dual_fmamk_f32 v112, v27, 0x3ed4b147, v26 :: v_dual_add_f32 v9, v21, v93
	v_fma_f32 v26, 0x3ed4b147, v27, -v26
	v_fmamk_f32 v27, v29, 0x3f4178ce, v80
	v_dual_fmac_f32 v80, 0xbf4178ce, v29 :: v_dual_add_f32 v55, v99, v91
	v_fmamk_f32 v3, v29, 0xbf7d64f0, v81
	v_fmac_f32_e32 v81, 0x3f7d64f0, v29
	v_dual_add_f32 v1, v18, v1 :: v_dual_add_f32 v2, v19, v2
	v_add_f32_e32 v9, v108, v9
	v_add_f32_e32 v4, v4, v10
	;; [unrolled: 1-line block ×4, first 2 shown]
	v_dual_add_f32 v21, v106, v53 :: v_dual_add_f32 v12, v52, v12
	v_add_f32_e32 v13, v25, v14
	v_add_f32_e32 v14, v69, v15
	v_add_f32_e32 v15, v101, v17
	v_add_f32_e32 v17, v105, v34
	v_dual_add_f32 v54, v98, v90 :: v_dual_add_f32 v19, v71, v36
	v_add_f32_e32 v52, v96, v88
	v_add_f32_e32 v4, v4, v5
	;; [unrolled: 1-line block ×3, first 2 shown]
	s_delay_alu instid0(VALU_DEP_4)
	v_add_f32_e32 v35, v103, v54
	v_dual_add_f32 v10, v27, v13 :: v_dual_fmac_f32 v85, 0xbe903f40, v31
	v_dual_add_f32 v20, v102, v52 :: v_dual_add_f32 v13, v80, v14
	v_dual_add_f32 v14, v109, v15 :: v_dual_add_f32 v15, v3, v17
	v_add_f32_e32 v3, v11, v61
	v_dual_fmamk_f32 v29, v30, 0xbf75a155, v84 :: v_dual_add_f32 v56, v100, v92
	v_add_f32_e32 v1, v22, v1
	v_add_f32_e32 v34, v73, v49
	;; [unrolled: 1-line block ×3, first 2 shown]
	v_dual_add_f32 v18, v81, v19 :: v_dual_add_f32 v19, v110, v20
	v_dual_add_f32 v12, v68, v12 :: v_dual_add_f32 v3, v3, v62
	v_add_f32_e32 v2, v23, v2
	v_dual_add_f32 v16, v16, v21 :: v_dual_add_f32 v21, v82, v34
	s_delay_alu instid0(VALU_DEP_3) | instskip(NEXT) | instid1(VALU_DEP_4)
	v_add_f32_e32 v12, v76, v12
	v_dual_add_f32 v26, v26, v1 :: v_dual_add_f32 v1, v3, v63
	v_add_f32_e32 v3, v29, v5
	v_fma_f32 v5, 0xbf75a155, v30, -v84
	v_add_f32_e32 v4, v4, v6
	v_dual_add_f32 v48, v64, v48 :: v_dual_add_f32 v49, v75, v51
	v_add_f32_e32 v6, v85, v13
	s_delay_alu instid0(VALU_DEP_4) | instskip(SKIP_4) | instid1(VALU_DEP_4)
	v_add_f32_e32 v5, v5, v12
	v_mul_f32_e32 v12, 0xbf4178ce, v32
	v_add_f32_e32 v22, v111, v35
	v_add_f32_e32 v4, v4, v8
	v_dual_add_f32 v50, v66, v50 :: v_dual_add_f32 v25, v72, v48
	v_fmamk_f32 v13, v30, 0xbf27a4f4, v12
	v_mul_f32_e32 v8, 0x3f0a6770, v32
	v_add_f32_e32 v28, v28, v2
	v_add_f32_e32 v2, v4, v7
	;; [unrolled: 1-line block ×3, first 2 shown]
	s_delay_alu instid0(VALU_DEP_4)
	v_dual_mul_f32 v10, 0x3f575c64, v33 :: v_dual_fmamk_f32 v7, v30, 0x3f575c64, v8
	v_add_f32_e32 v48, v74, v50
	v_add_f32_e32 v50, v104, v56
	v_add_f32_e32 v20, v78, v25
	v_add_f32_e32 v25, v83, v49
	v_add_f32_e32 v36, v107, v55
	v_dual_add_f32 v34, v114, v9 :: v_dual_add_f32 v7, v7, v14
	v_fmamk_f32 v9, v31, 0xbf0a6770, v10
	v_fma_f32 v11, 0x3f575c64, v30, -v8
	v_dual_mul_f32 v14, 0xbf27a4f4, v33 :: v_dual_add_f32 v27, v112, v50
	v_add_f32_e32 v23, v113, v36
	v_add_f32_e32 v24, v79, v48
	v_fmac_f32_e32 v10, 0x3f0a6770, v31
	v_dual_add_f32 v8, v9, v15 :: v_dual_add_f32 v9, v11, v17
	v_add_f32_e32 v11, v13, v19
	v_fmamk_f32 v13, v31, 0x3f4178ce, v14
	s_delay_alu instid0(VALU_DEP_4) | instskip(SKIP_2) | instid1(VALU_DEP_4)
	v_dual_mul_f32 v15, 0x3f68dda4, v32 :: v_dual_add_f32 v10, v10, v18
	v_fma_f32 v17, 0xbf27a4f4, v30, -v12
	v_mul_f32_e32 v18, 0x3ed4b147, v33
	v_add_f32_e32 v12, v13, v16
	s_delay_alu instid0(VALU_DEP_4) | instskip(NEXT) | instid1(VALU_DEP_4)
	v_fmamk_f32 v16, v30, 0x3ed4b147, v15
	v_dual_fmac_f32 v14, 0xbf4178ce, v31 :: v_dual_add_f32 v13, v17, v20
	s_delay_alu instid0(VALU_DEP_4) | instskip(SKIP_1) | instid1(VALU_DEP_4)
	v_fmamk_f32 v17, v31, 0xbf68dda4, v18
	v_fma_f32 v19, 0x3ed4b147, v30, -v15
	v_dual_add_f32 v15, v16, v22 :: v_dual_mul_f32 v20, 0xbf7d64f0, v32
	v_mul_f32_e32 v22, 0xbe11bafb, v33
	v_add_f32_e32 v14, v14, v21
	s_delay_alu instid0(VALU_DEP_4) | instskip(NEXT) | instid1(VALU_DEP_4)
	v_dual_add_f32 v16, v17, v23 :: v_dual_add_f32 v17, v19, v24
	v_fmamk_f32 v19, v30, 0xbe11bafb, v20
	s_delay_alu instid0(VALU_DEP_4)
	v_fmamk_f32 v21, v31, 0x3f7d64f0, v22
	v_mul_lo_u32 v36, v0, s2
	v_fmac_f32_e32 v18, 0x3f68dda4, v31
	v_fma_f32 v23, 0xbe11bafb, v30, -v20
	v_fmac_f32_e32 v22, 0xbf7d64f0, v31
	v_dual_add_f32 v19, v19, v27 :: v_dual_add_f32 v20, v21, v34
	s_delay_alu instid0(VALU_DEP_3) | instskip(NEXT) | instid1(VALU_DEP_3)
	v_dual_add_f32 v18, v18, v25 :: v_dual_add_f32 v21, v23, v26
	v_add_f32_e32 v22, v22, v28
	ds_store_2addr_b64 v43, v[1:2], v[3:4] offset1:121
	ds_store_2addr_b64 v44, v[7:8], v[11:12] offset0:114 offset1:235
	ds_store_2addr_b64 v47, v[15:16], v[19:20] offset0:100 offset1:221
	;; [unrolled: 1-line block ×4, first 2 shown]
	ds_store_b64 v43, v[5:6] offset:9680
	v_lshlrev_b64_e32 v[8:9], 3, v[36:37]
	v_add_nc_u32_e32 v36, s6, v36
	global_wb scope:SCOPE_SE
	s_wait_dscnt 0x0
	s_barrier_signal -1
	s_barrier_wait -1
	global_inv scope:SCOPE_SE
	ds_load_2addr_b64 v[0:3], v38 offset1:121
	ds_load_2addr_b64 v[4:7], v42 offset0:114 offset1:235
	v_lshlrev_b64_e32 v[10:11], 3, v[36:37]
	v_add_nc_u32_e32 v36, s6, v36
	s_lshl_b64 s[2:3], s[8:9], 3
	s_wait_alu 0xfffe
	s_add_nc_u64 s[0:1], s[0:1], s[2:3]
	s_wait_alu 0xfffe
	v_add_co_u32 v8, vcc_lo, s0, v8
	v_lshlrev_b64_e32 v[12:13], 3, v[36:37]
	s_wait_alu 0xfffd
	v_add_co_ci_u32_e32 v9, vcc_lo, s1, v9, vcc_lo
	v_add_co_u32 v10, vcc_lo, s0, v10
	s_wait_alu 0xfffd
	v_add_co_ci_u32_e32 v11, vcc_lo, s1, v11, vcc_lo
	v_add_nc_u32_e32 v36, s6, v36
	v_add_co_u32 v12, vcc_lo, s0, v12
	s_wait_alu 0xfffd
	v_add_co_ci_u32_e32 v13, vcc_lo, s1, v13, vcc_lo
	s_delay_alu instid0(VALU_DEP_3)
	v_lshlrev_b64_e32 v[14:15], 3, v[36:37]
	v_add_nc_u32_e32 v36, s6, v36
	s_wait_dscnt 0x1
	s_clause 0x1
	global_store_b64 v[8:9], v[0:1], off
	global_store_b64 v[10:11], v[2:3], off
	s_wait_dscnt 0x0
	global_store_b64 v[12:13], v[4:5], off
	ds_load_2addr_b64 v[0:3], v41 offset0:100 offset1:221
	v_lshlrev_b64_e32 v[4:5], 3, v[36:37]
	v_add_nc_u32_e32 v36, s6, v36
	v_add_co_u32 v8, vcc_lo, s0, v14
	s_wait_alu 0xfffd
	v_add_co_ci_u32_e32 v9, vcc_lo, s1, v15, vcc_lo
	s_delay_alu instid0(VALU_DEP_3) | instskip(SKIP_4) | instid1(VALU_DEP_4)
	v_lshlrev_b64_e32 v[10:11], 3, v[36:37]
	v_add_nc_u32_e32 v36, s6, v36
	v_add_co_u32 v4, vcc_lo, s0, v4
	s_wait_alu 0xfffd
	v_add_co_ci_u32_e32 v5, vcc_lo, s1, v5, vcc_lo
	v_add_co_u32 v10, vcc_lo, s0, v10
	v_lshlrev_b64_e32 v[12:13], 3, v[36:37]
	v_add_nc_u32_e32 v36, s6, v36
	s_wait_alu 0xfffd
	v_add_co_ci_u32_e32 v11, vcc_lo, s1, v11, vcc_lo
	global_store_b64 v[8:9], v[6:7], off
	s_wait_dscnt 0x0
	s_clause 0x1
	global_store_b64 v[4:5], v[0:1], off
	global_store_b64 v[10:11], v[2:3], off
	v_lshlrev_b64_e32 v[8:9], 3, v[36:37]
	v_add_nc_u32_e32 v36, s6, v36
	v_add_co_u32 v10, vcc_lo, s0, v12
	ds_load_2addr_b64 v[0:3], v40 offset0:86 offset1:207
	s_wait_alu 0xfffd
	v_add_co_ci_u32_e32 v11, vcc_lo, s1, v13, vcc_lo
	v_lshlrev_b64_e32 v[12:13], 3, v[36:37]
	v_add_nc_u32_e32 v36, s6, v36
	ds_load_2addr_b64 v[4:7], v39 offset0:72 offset1:193
	ds_load_b64 v[14:15], v38 offset:9680
	v_add_co_u32 v8, vcc_lo, s0, v8
	v_lshlrev_b64_e32 v[16:17], 3, v[36:37]
	v_add_nc_u32_e32 v36, s6, v36
	s_wait_alu 0xfffd
	v_add_co_ci_u32_e32 v9, vcc_lo, s1, v9, vcc_lo
	v_add_co_u32 v12, vcc_lo, s0, v12
	s_delay_alu instid0(VALU_DEP_3)
	v_lshlrev_b64_e32 v[18:19], 3, v[36:37]
	s_wait_alu 0xfffd
	v_add_co_ci_u32_e32 v13, vcc_lo, s1, v13, vcc_lo
	v_add_co_u32 v16, vcc_lo, s0, v16
	s_wait_alu 0xfffd
	v_add_co_ci_u32_e32 v17, vcc_lo, s1, v17, vcc_lo
	v_add_co_u32 v18, vcc_lo, s0, v18
	s_wait_alu 0xfffd
	v_add_co_ci_u32_e32 v19, vcc_lo, s1, v19, vcc_lo
	s_wait_dscnt 0x2
	s_clause 0x1
	global_store_b64 v[10:11], v[0:1], off
	global_store_b64 v[8:9], v[2:3], off
	s_wait_dscnt 0x1
	s_clause 0x1
	global_store_b64 v[12:13], v[4:5], off
	global_store_b64 v[16:17], v[6:7], off
	s_wait_dscnt 0x0
	global_store_b64 v[18:19], v[14:15], off
	s_nop 0
	s_sendmsg sendmsg(MSG_DEALLOC_VGPRS)
	s_endpgm
	.section	.rodata,"a",@progbits
	.p2align	6, 0x0
	.amdhsa_kernel fft_rtc_back_len1331_factors_11_11_11_wgs_121_tpt_121_sp_op_CI_CI_sbrc_xy_z_diag
		.amdhsa_group_segment_fixed_size 0
		.amdhsa_private_segment_fixed_size 0
		.amdhsa_kernarg_size 104
		.amdhsa_user_sgpr_count 2
		.amdhsa_user_sgpr_dispatch_ptr 0
		.amdhsa_user_sgpr_queue_ptr 0
		.amdhsa_user_sgpr_kernarg_segment_ptr 1
		.amdhsa_user_sgpr_dispatch_id 0
		.amdhsa_user_sgpr_private_segment_size 0
		.amdhsa_wavefront_size32 1
		.amdhsa_uses_dynamic_stack 0
		.amdhsa_enable_private_segment 0
		.amdhsa_system_sgpr_workgroup_id_x 1
		.amdhsa_system_sgpr_workgroup_id_y 0
		.amdhsa_system_sgpr_workgroup_id_z 0
		.amdhsa_system_sgpr_workgroup_info 0
		.amdhsa_system_vgpr_workitem_id 0
		.amdhsa_next_free_vgpr 115
		.amdhsa_next_free_sgpr 27
		.amdhsa_reserve_vcc 1
		.amdhsa_float_round_mode_32 0
		.amdhsa_float_round_mode_16_64 0
		.amdhsa_float_denorm_mode_32 3
		.amdhsa_float_denorm_mode_16_64 3
		.amdhsa_fp16_overflow 0
		.amdhsa_workgroup_processor_mode 1
		.amdhsa_memory_ordered 1
		.amdhsa_forward_progress 0
		.amdhsa_round_robin_scheduling 0
		.amdhsa_exception_fp_ieee_invalid_op 0
		.amdhsa_exception_fp_denorm_src 0
		.amdhsa_exception_fp_ieee_div_zero 0
		.amdhsa_exception_fp_ieee_overflow 0
		.amdhsa_exception_fp_ieee_underflow 0
		.amdhsa_exception_fp_ieee_inexact 0
		.amdhsa_exception_int_div_zero 0
	.end_amdhsa_kernel
	.text
.Lfunc_end0:
	.size	fft_rtc_back_len1331_factors_11_11_11_wgs_121_tpt_121_sp_op_CI_CI_sbrc_xy_z_diag, .Lfunc_end0-fft_rtc_back_len1331_factors_11_11_11_wgs_121_tpt_121_sp_op_CI_CI_sbrc_xy_z_diag
                                        ; -- End function
	.section	.AMDGPU.csdata,"",@progbits
; Kernel info:
; codeLenInByte = 9212
; NumSgprs: 29
; NumVgprs: 115
; ScratchSize: 0
; MemoryBound: 0
; FloatMode: 240
; IeeeMode: 1
; LDSByteSize: 0 bytes/workgroup (compile time only)
; SGPRBlocks: 3
; VGPRBlocks: 14
; NumSGPRsForWavesPerEU: 29
; NumVGPRsForWavesPerEU: 115
; Occupancy: 12
; WaveLimiterHint : 1
; COMPUTE_PGM_RSRC2:SCRATCH_EN: 0
; COMPUTE_PGM_RSRC2:USER_SGPR: 2
; COMPUTE_PGM_RSRC2:TRAP_HANDLER: 0
; COMPUTE_PGM_RSRC2:TGID_X_EN: 1
; COMPUTE_PGM_RSRC2:TGID_Y_EN: 0
; COMPUTE_PGM_RSRC2:TGID_Z_EN: 0
; COMPUTE_PGM_RSRC2:TIDIG_COMP_CNT: 0
	.text
	.p2alignl 7, 3214868480
	.fill 96, 4, 3214868480
	.type	__hip_cuid_616a76ddfa35f30f,@object ; @__hip_cuid_616a76ddfa35f30f
	.section	.bss,"aw",@nobits
	.globl	__hip_cuid_616a76ddfa35f30f
__hip_cuid_616a76ddfa35f30f:
	.byte	0                               ; 0x0
	.size	__hip_cuid_616a76ddfa35f30f, 1

	.ident	"AMD clang version 19.0.0git (https://github.com/RadeonOpenCompute/llvm-project roc-6.4.0 25133 c7fe45cf4b819c5991fe208aaa96edf142730f1d)"
	.section	".note.GNU-stack","",@progbits
	.addrsig
	.addrsig_sym __hip_cuid_616a76ddfa35f30f
	.amdgpu_metadata
---
amdhsa.kernels:
  - .args:
      - .actual_access:  read_only
        .address_space:  global
        .offset:         0
        .size:           8
        .value_kind:     global_buffer
      - .offset:         8
        .size:           8
        .value_kind:     by_value
      - .actual_access:  read_only
        .address_space:  global
        .offset:         16
        .size:           8
        .value_kind:     global_buffer
      - .actual_access:  read_only
        .address_space:  global
        .offset:         24
        .size:           8
        .value_kind:     global_buffer
      - .actual_access:  read_only
        .address_space:  global
        .offset:         32
        .size:           8
        .value_kind:     global_buffer
      - .offset:         40
        .size:           8
        .value_kind:     by_value
      - .actual_access:  read_only
        .address_space:  global
        .offset:         48
        .size:           8
        .value_kind:     global_buffer
      - .actual_access:  read_only
        .address_space:  global
        .offset:         56
        .size:           8
        .value_kind:     global_buffer
      - .offset:         64
        .size:           4
        .value_kind:     by_value
      - .actual_access:  read_only
        .address_space:  global
        .offset:         72
        .size:           8
        .value_kind:     global_buffer
      - .actual_access:  read_only
        .address_space:  global
        .offset:         80
        .size:           8
        .value_kind:     global_buffer
      - .actual_access:  read_only
        .address_space:  global
        .offset:         88
        .size:           8
        .value_kind:     global_buffer
      - .actual_access:  write_only
        .address_space:  global
        .offset:         96
        .size:           8
        .value_kind:     global_buffer
    .group_segment_fixed_size: 0
    .kernarg_segment_align: 8
    .kernarg_segment_size: 104
    .language:       OpenCL C
    .language_version:
      - 2
      - 0
    .max_flat_workgroup_size: 121
    .name:           fft_rtc_back_len1331_factors_11_11_11_wgs_121_tpt_121_sp_op_CI_CI_sbrc_xy_z_diag
    .private_segment_fixed_size: 0
    .sgpr_count:     29
    .sgpr_spill_count: 0
    .symbol:         fft_rtc_back_len1331_factors_11_11_11_wgs_121_tpt_121_sp_op_CI_CI_sbrc_xy_z_diag.kd
    .uniform_work_group_size: 1
    .uses_dynamic_stack: false
    .vgpr_count:     115
    .vgpr_spill_count: 0
    .wavefront_size: 32
    .workgroup_processor_mode: 1
amdhsa.target:   amdgcn-amd-amdhsa--gfx1201
amdhsa.version:
  - 1
  - 2
...

	.end_amdgpu_metadata
